;; amdgpu-corpus repo=ROCm/rocFFT kind=compiled arch=gfx950 opt=O3
	.text
	.amdgcn_target "amdgcn-amd-amdhsa--gfx950"
	.amdhsa_code_object_version 6
	.protected	bluestein_single_back_len196_dim1_dp_op_CI_CI ; -- Begin function bluestein_single_back_len196_dim1_dp_op_CI_CI
	.globl	bluestein_single_back_len196_dim1_dp_op_CI_CI
	.p2align	8
	.type	bluestein_single_back_len196_dim1_dp_op_CI_CI,@function
bluestein_single_back_len196_dim1_dp_op_CI_CI: ; @bluestein_single_back_len196_dim1_dp_op_CI_CI
; %bb.0:
	s_load_dwordx4 s[12:15], s[0:1], 0x28
	v_mul_u32_u24_e32 v1, 0x925, v0
	v_lshrrev_b32_e32 v18, 16, v1
	v_mov_b32_e32 v99, 0
	v_lshl_add_u32 v100, s2, 1, v18
	v_mov_b32_e32 v101, v99
	s_waitcnt lgkmcnt(0)
	v_cmp_gt_u64_e32 vcc, s[12:13], v[100:101]
	s_and_saveexec_b64 s[2:3], vcc
	s_cbranch_execz .LBB0_15
; %bb.1:
	s_load_dwordx4 s[4:7], s[0:1], 0x18
	s_load_dwordx2 s[12:13], s[0:1], 0x0
	v_mul_lo_u16_e32 v1, 28, v18
	v_sub_u16_e32 v98, v0, v1
	v_mov_b32_e32 v2, s14
	s_waitcnt lgkmcnt(0)
	s_load_dwordx4 s[8:11], s[4:5], 0x0
	v_mov_b32_e32 v3, s15
	v_lshlrev_b32_e32 v36, 4, v98
	v_and_b32_e32 v18, 1, v18
	v_mov_b32_e32 v19, 0xc40
	s_waitcnt lgkmcnt(0)
	v_mad_u64_u32 v[0:1], s[2:3], s10, v100, 0
	v_mov_b32_e32 v4, v1
	v_mad_u64_u32 v[4:5], s[2:3], s11, v100, v[4:5]
	v_mov_b32_e32 v1, v4
	;; [unrolled: 2-line block ×3, first 2 shown]
	v_mad_u64_u32 v[6:7], s[2:3], s9, v98, v[6:7]
	s_mul_i32 s2, s9, 49
	s_mul_hi_u32 s3, s8, 49
	v_mov_b32_e32 v5, v6
	v_lshl_add_u64 v[0:1], v[0:1], 4, v[2:3]
	s_add_i32 s3, s3, s2
	s_mul_i32 s2, s8, 49
	v_lshl_add_u64 v[4:5], v[4:5], 4, v[0:1]
	s_lshl_b64 s[10:11], s[2:3], 4
	global_load_dwordx4 v[0:3], v36, s[12:13]
	global_load_dwordx4 v[20:23], v[4:5], off
	v_lshl_add_u64 v[4:5], v[4:5], 0, s[10:11]
	global_load_dwordx4 v[24:27], v[4:5], off
	global_load_dwordx4 v[12:15], v36, s[12:13] offset:784
	v_lshl_add_u64 v[8:9], v[4:5], 0, s[10:11]
	global_load_dwordx4 v[28:31], v[8:9], off
	global_load_dwordx4 v[4:7], v36, s[12:13] offset:1568
	v_lshl_add_u64 v[16:17], v[8:9], 0, s[10:11]
	global_load_dwordx4 v[8:11], v36, s[12:13] offset:2352
	global_load_dwordx4 v[32:35], v[16:17], off
	v_cmp_eq_u32_e32 vcc, 1, v18
	v_mov_b32_e32 v37, v99
	s_load_dwordx2 s[2:3], s[0:1], 0x38
	v_cndmask_b32_e32 v48, 0, v19, vcc
	v_add_u32_e32 v101, v48, v36
	s_load_dwordx4 s[4:7], s[6:7], 0x0
	v_lshl_add_u64 v[96:97], s[12:13], 0, v[36:37]
	v_cmp_gt_u16_e32 vcc, 21, v98
	s_waitcnt vmcnt(6)
	v_mul_f64 v[18:19], v[22:23], v[2:3]
	v_mul_f64 v[36:37], v[20:21], v[2:3]
	v_fmac_f64_e32 v[18:19], v[20:21], v[0:1]
	v_fma_f64 v[20:21], v[22:23], v[0:1], -v[36:37]
	s_waitcnt vmcnt(4)
	v_mul_f64 v[22:23], v[26:27], v[14:15]
	v_mul_f64 v[36:37], v[24:25], v[14:15]
	v_fmac_f64_e32 v[22:23], v[24:25], v[12:13]
	v_fma_f64 v[24:25], v[26:27], v[12:13], -v[36:37]
	ds_write_b128 v101, v[18:21]
	s_waitcnt vmcnt(2)
	v_mul_f64 v[18:19], v[30:31], v[6:7]
	v_mul_f64 v[20:21], v[28:29], v[6:7]
	ds_write_b128 v101, v[22:25] offset:784
	s_waitcnt vmcnt(0)
	v_mul_f64 v[22:23], v[34:35], v[10:11]
	v_mul_f64 v[24:25], v[32:33], v[10:11]
	v_fmac_f64_e32 v[18:19], v[28:29], v[4:5]
	v_fma_f64 v[20:21], v[30:31], v[4:5], -v[20:21]
	v_fmac_f64_e32 v[22:23], v[32:33], v[8:9]
	v_fma_f64 v[24:25], v[34:35], v[8:9], -v[24:25]
	ds_write_b128 v101, v[18:21] offset:1568
	ds_write_b128 v101, v[22:25] offset:2352
	s_and_saveexec_b64 s[14:15], vcc
	s_cbranch_execz .LBB0_3
; %bb.2:
	v_mov_b32_e32 v18, 0xfffff890
	s_mulk_i32 s9, 0xf890
	v_mad_u64_u32 v[24:25], s[16:17], s8, v18, v[16:17]
	s_sub_i32 s8, s9, s8
	v_add_u32_e32 v25, s8, v25
	global_load_dwordx4 v[16:19], v[24:25], off
	global_load_dwordx4 v[20:23], v[96:97], off offset:448
	v_lshl_add_u64 v[32:33], v[24:25], 0, s[10:11]
	global_load_dwordx4 v[24:27], v[32:33], off
	global_load_dwordx4 v[28:31], v[96:97], off offset:1232
	v_lshl_add_u64 v[44:45], v[32:33], 0, s[10:11]
	global_load_dwordx4 v[32:35], v[44:45], off
	global_load_dwordx4 v[36:39], v[96:97], off offset:2016
	global_load_dwordx4 v[40:43], v[96:97], off offset:2800
	v_lshl_add_u64 v[44:45], v[44:45], 0, s[10:11]
	global_load_dwordx4 v[44:47], v[44:45], off
	s_waitcnt vmcnt(6)
	v_mul_f64 v[50:51], v[18:19], v[22:23]
	v_mul_f64 v[22:23], v[16:17], v[22:23]
	v_fmac_f64_e32 v[50:51], v[16:17], v[20:21]
	v_fma_f64 v[52:53], v[18:19], v[20:21], -v[22:23]
	s_waitcnt vmcnt(4)
	v_mul_f64 v[16:17], v[26:27], v[30:31]
	v_mul_f64 v[18:19], v[24:25], v[30:31]
	v_fmac_f64_e32 v[16:17], v[24:25], v[28:29]
	v_fma_f64 v[18:19], v[26:27], v[28:29], -v[18:19]
	s_waitcnt vmcnt(2)
	v_mul_f64 v[20:21], v[34:35], v[38:39]
	v_mul_f64 v[22:23], v[32:33], v[38:39]
	ds_write_b128 v101, v[16:19] offset:1232
	s_waitcnt vmcnt(0)
	v_mul_f64 v[16:17], v[46:47], v[42:43]
	v_mul_f64 v[18:19], v[44:45], v[42:43]
	v_fmac_f64_e32 v[20:21], v[32:33], v[36:37]
	v_fma_f64 v[22:23], v[34:35], v[36:37], -v[22:23]
	v_fmac_f64_e32 v[16:17], v[44:45], v[40:41]
	v_fma_f64 v[18:19], v[46:47], v[40:41], -v[18:19]
	ds_write_b128 v101, v[50:53] offset:448
	ds_write_b128 v101, v[20:23] offset:2016
	;; [unrolled: 1-line block ×3, first 2 shown]
.LBB0_3:
	s_or_b64 exec, exec, s[14:15]
	s_waitcnt lgkmcnt(0)
	; wave barrier
	s_waitcnt lgkmcnt(0)
	ds_read_b128 v[28:31], v101
	ds_read_b128 v[16:19], v101 offset:784
	ds_read_b128 v[40:43], v101 offset:1568
	;; [unrolled: 1-line block ×3, first 2 shown]
	s_load_dwordx2 s[0:1], s[0:1], 0x8
                                        ; implicit-def: $vgpr20_vgpr21
                                        ; implicit-def: $vgpr44_vgpr45
                                        ; implicit-def: $vgpr36_vgpr37
                                        ; implicit-def: $vgpr24_vgpr25
	s_and_saveexec_b64 s[8:9], vcc
	s_cbranch_execz .LBB0_5
; %bb.4:
	ds_read_b128 v[20:23], v101 offset:448
	ds_read_b128 v[24:27], v101 offset:1232
	;; [unrolled: 1-line block ×4, first 2 shown]
.LBB0_5:
	s_or_b64 exec, exec, s[8:9]
	s_waitcnt lgkmcnt(0)
	v_add_f64 v[58:59], v[28:29], -v[40:41]
	v_add_f64 v[60:61], v[30:31], -v[42:43]
	;; [unrolled: 1-line block ×4, first 2 shown]
	v_fma_f64 v[28:29], v[28:29], 2.0, -v[58:59]
	v_fma_f64 v[30:31], v[30:31], 2.0, -v[60:61]
	;; [unrolled: 1-line block ×4, first 2 shown]
	v_add_f64 v[40:41], v[28:29], -v[16:17]
	v_add_f64 v[42:43], v[30:31], -v[18:19]
	v_lshl_add_u64 v[62:63], v[98:99], 0, 28
	v_fma_f64 v[50:51], v[28:29], 2.0, -v[40:41]
	v_fma_f64 v[52:53], v[30:31], 2.0, -v[42:43]
	v_add_f64 v[54:55], v[58:59], -v[34:35]
	v_add_f64 v[56:57], v[60:61], v[32:33]
	v_add_f64 v[28:29], v[20:21], -v[36:37]
	v_add_f64 v[32:33], v[22:23], -v[38:39]
	;; [unrolled: 1-line block ×4, first 2 shown]
	v_lshlrev_b16_e32 v36, 2, v98
	v_add_f64 v[16:17], v[28:29], -v[34:35]
	v_add_f64 v[18:19], v[32:33], v[30:31]
	v_lshl_add_u32 v102, v36, 4, v48
	v_lshl_add_u32 v99, v62, 6, v48
	v_fma_f64 v[58:59], v[58:59], 2.0, -v[54:55]
	v_fma_f64 v[60:61], v[60:61], 2.0, -v[56:57]
	s_waitcnt lgkmcnt(0)
	; wave barrier
	ds_write_b128 v102, v[50:53]
	ds_write_b128 v102, v[58:61] offset:16
	ds_write_b128 v102, v[40:43] offset:32
	;; [unrolled: 1-line block ×3, first 2 shown]
	s_and_saveexec_b64 s[8:9], vcc
	s_cbranch_execz .LBB0_7
; %bb.6:
	v_fma_f64 v[38:39], v[32:33], 2.0, -v[18:19]
	v_fma_f64 v[36:37], v[28:29], 2.0, -v[16:17]
	;; [unrolled: 1-line block ×6, first 2 shown]
	v_add_f64 v[22:23], v[32:33], -v[22:23]
	v_add_f64 v[20:21], v[28:29], -v[20:21]
	v_fma_f64 v[26:27], v[32:33], 2.0, -v[22:23]
	v_fma_f64 v[24:25], v[28:29], 2.0, -v[20:21]
	ds_write_b128 v99, v[24:27]
	ds_write_b128 v99, v[36:39] offset:16
	ds_write_b128 v99, v[20:23] offset:32
	;; [unrolled: 1-line block ×3, first 2 shown]
.LBB0_7:
	s_or_b64 exec, exec, s[8:9]
	v_and_b32_e32 v49, 3, v98
	v_mul_u32_u24_e32 v20, 6, v49
	v_lshlrev_b32_e32 v44, 4, v20
	s_waitcnt lgkmcnt(0)
	; wave barrier
	s_waitcnt lgkmcnt(0)
	global_load_dwordx4 v[32:35], v44, s[0:1]
	global_load_dwordx4 v[28:31], v44, s[0:1] offset:16
	global_load_dwordx4 v[24:27], v44, s[0:1] offset:32
	;; [unrolled: 1-line block ×5, first 2 shown]
	ds_read_b128 v[44:47], v101
	ds_read_b128 v[50:53], v101 offset:448
	ds_read_b128 v[54:57], v101 offset:896
	;; [unrolled: 1-line block ×6, first 2 shown]
	s_mov_b32 s10, 0x37e14327
	s_mov_b32 s8, 0x36b3c0b5
	;; [unrolled: 1-line block ×20, first 2 shown]
	s_waitcnt lgkmcnt(0)
	; wave barrier
	s_waitcnt lgkmcnt(0)
	s_movk_i32 s30, 0x60
	s_waitcnt vmcnt(5)
	v_mul_f64 v[74:75], v[52:53], v[34:35]
	v_mul_f64 v[76:77], v[50:51], v[34:35]
	s_waitcnt vmcnt(4)
	v_mul_f64 v[78:79], v[56:57], v[30:31]
	s_waitcnt vmcnt(3)
	v_mul_f64 v[82:83], v[60:61], v[26:27]
	v_mul_f64 v[84:85], v[58:59], v[26:27]
	s_waitcnt vmcnt(1)
	v_mul_f64 v[90:91], v[68:69], v[42:43]
	s_waitcnt vmcnt(0)
	v_mul_f64 v[94:95], v[72:73], v[38:39]
	v_mul_f64 v[80:81], v[54:55], v[30:31]
	;; [unrolled: 1-line block ×5, first 2 shown]
	v_fma_f64 v[50:51], v[50:51], v[32:33], -v[74:75]
	v_fmac_f64_e32 v[76:77], v[52:53], v[32:33]
	v_fma_f64 v[52:53], v[54:55], v[28:29], -v[78:79]
	v_fma_f64 v[54:55], v[58:59], v[24:25], -v[82:83]
	v_fmac_f64_e32 v[84:85], v[60:61], v[24:25]
	v_fma_f64 v[58:59], v[66:67], v[40:41], -v[90:91]
	v_fma_f64 v[60:61], v[70:71], v[36:37], -v[94:95]
	v_mul_f64 v[88:89], v[62:63], v[22:23]
	v_fmac_f64_e32 v[80:81], v[56:57], v[28:29]
	v_fma_f64 v[56:57], v[62:63], v[20:21], -v[86:87]
	v_fmac_f64_e32 v[92:93], v[68:69], v[40:41]
	v_fmac_f64_e32 v[104:105], v[72:73], v[36:37]
	v_add_f64 v[62:63], v[50:51], v[60:61]
	v_add_f64 v[66:67], v[52:53], v[58:59]
	v_fmac_f64_e32 v[88:89], v[64:65], v[20:21]
	v_add_f64 v[64:65], v[76:77], v[104:105]
	v_add_f64 v[68:69], v[80:81], v[92:93]
	;; [unrolled: 1-line block ×4, first 2 shown]
	v_add_f64 v[50:51], v[50:51], -v[60:61]
	v_add_f64 v[60:61], v[76:77], -v[104:105]
	v_add_f64 v[72:73], v[84:85], v[88:89]
	v_add_f64 v[76:77], v[68:69], v[64:65]
	v_add_f64 v[78:79], v[66:67], -v[62:63]
	v_add_f64 v[62:63], v[62:63], -v[70:71]
	;; [unrolled: 1-line block ×3, first 2 shown]
	v_add_f64 v[70:71], v[70:71], v[74:75]
	v_add_f64 v[52:53], v[52:53], -v[58:59]
	v_add_f64 v[58:59], v[80:81], -v[92:93]
	;; [unrolled: 1-line block ×5, first 2 shown]
	v_add_f64 v[72:73], v[72:73], v[76:77]
	v_add_f64 v[44:45], v[44:45], v[70:71]
	v_add_f64 v[46:47], v[46:47], v[72:73]
	v_mov_b64_e32 v[90:91], v[44:45]
	v_mul_f64 v[62:63], v[62:63], s[10:11]
	v_mul_f64 v[64:65], v[64:65], s[10:11]
	;; [unrolled: 1-line block ×4, first 2 shown]
	v_fmac_f64_e32 v[90:91], s[26:27], v[70:71]
	v_mov_b64_e32 v[70:71], v[46:47]
	v_add_f64 v[54:55], v[56:57], -v[54:55]
	v_add_f64 v[56:57], v[88:89], -v[84:85]
	v_fmac_f64_e32 v[70:71], s[26:27], v[72:73]
	v_fma_f64 v[72:73], v[78:79], s[20:21], -v[74:75]
	v_fma_f64 v[74:75], v[80:81], s[20:21], -v[76:77]
	;; [unrolled: 1-line block ×3, first 2 shown]
	v_fmac_f64_e32 v[62:63], s[8:9], v[66:67]
	v_fma_f64 v[66:67], v[80:81], s[22:23], -v[64:65]
	v_fmac_f64_e32 v[64:65], s[8:9], v[68:69]
	v_add_f64 v[82:83], v[54:55], v[52:53]
	v_add_f64 v[84:85], v[56:57], v[58:59]
	v_add_f64 v[86:87], v[54:55], -v[52:53]
	v_add_f64 v[88:89], v[56:57], -v[58:59]
	;; [unrolled: 1-line block ×4, first 2 shown]
	v_add_f64 v[92:93], v[64:65], v[70:71]
	v_add_f64 v[64:65], v[74:75], v[70:71]
	v_lshrrev_b32_e32 v74, 2, v98
	v_add_f64 v[54:55], v[50:51], -v[54:55]
	v_add_f64 v[56:57], v[60:61], -v[56:57]
	v_add_f64 v[50:51], v[82:83], v[50:51]
	v_add_f64 v[60:61], v[84:85], v[60:61]
	v_mul_f64 v[82:83], v[86:87], s[14:15]
	v_mul_f64 v[84:85], v[88:89], s[14:15]
	;; [unrolled: 1-line block ×4, first 2 shown]
	v_mul_u32_u24_e32 v74, 28, v74
	v_fma_f64 v[68:69], v[52:53], s[16:17], -v[82:83]
	v_fmac_f64_e32 v[82:83], s[24:25], v[54:55]
	v_fma_f64 v[78:79], v[58:59], s[16:17], -v[84:85]
	v_fmac_f64_e32 v[84:85], s[24:25], v[56:57]
	v_fma_f64 v[80:81], v[54:55], s[28:29], -v[86:87]
	v_fma_f64 v[86:87], v[56:57], s[28:29], -v[88:89]
	v_or_b32_e32 v49, v74, v49
	v_add_f64 v[88:89], v[62:63], v[90:91]
	v_add_f64 v[62:63], v[72:73], v[90:91]
	;; [unrolled: 1-line block ×4, first 2 shown]
	v_fmac_f64_e32 v[82:83], s[18:19], v[50:51]
	v_fmac_f64_e32 v[84:85], s[18:19], v[60:61]
	;; [unrolled: 1-line block ×6, first 2 shown]
	v_lshl_add_u32 v103, v49, 4, v48
	v_add_f64 v[50:51], v[84:85], v[88:89]
	v_add_f64 v[52:53], v[92:93], -v[82:83]
	v_add_f64 v[54:55], v[86:87], v[72:73]
	v_add_f64 v[56:57], v[70:71], -v[80:81]
	v_add_f64 v[58:59], v[62:63], -v[78:79]
	v_add_f64 v[60:61], v[68:69], v[64:65]
	v_add_f64 v[62:63], v[78:79], v[62:63]
	v_add_f64 v[64:65], v[64:65], -v[68:69]
	v_add_f64 v[66:67], v[72:73], -v[86:87]
	v_add_f64 v[68:69], v[80:81], v[70:71]
	v_add_f64 v[70:71], v[88:89], -v[84:85]
	v_add_f64 v[72:73], v[82:83], v[92:93]
	ds_write_b128 v103, v[44:47]
	ds_write_b128 v103, v[50:53] offset:64
	ds_write_b128 v103, v[54:57] offset:128
	;; [unrolled: 1-line block ×6, first 2 shown]
	v_mov_b64_e32 v[44:45], s[0:1]
	v_mad_u64_u32 v[68:69], s[0:1], v98, s30, v[44:45]
	s_waitcnt lgkmcnt(0)
	; wave barrier
	s_waitcnt lgkmcnt(0)
	global_load_dwordx4 v[56:59], v[68:69], off offset:384
	global_load_dwordx4 v[52:55], v[68:69], off offset:400
	;; [unrolled: 1-line block ×6, first 2 shown]
	ds_read_b128 v[68:71], v101
	ds_read_b128 v[72:75], v101 offset:448
	ds_read_b128 v[76:79], v101 offset:896
	ds_read_b128 v[80:83], v101 offset:1344
	ds_read_b128 v[84:87], v101 offset:1792
	ds_read_b128 v[88:91], v101 offset:2240
	ds_read_b128 v[92:95], v101 offset:2688
	s_add_u32 s0, s12, 0xc40
	s_addc_u32 s1, s13, 0
	s_waitcnt vmcnt(5) lgkmcnt(5)
	v_mul_f64 v[104:105], v[74:75], v[58:59]
	v_fma_f64 v[104:105], v[72:73], v[56:57], -v[104:105]
	v_mul_f64 v[72:73], v[72:73], v[58:59]
	v_fmac_f64_e32 v[72:73], v[74:75], v[56:57]
	s_waitcnt vmcnt(4) lgkmcnt(4)
	v_mul_f64 v[74:75], v[78:79], v[54:55]
	v_fma_f64 v[74:75], v[76:77], v[52:53], -v[74:75]
	v_mul_f64 v[76:77], v[76:77], v[54:55]
	v_fmac_f64_e32 v[76:77], v[78:79], v[52:53]
	;; [unrolled: 5-line block ×6, first 2 shown]
	v_add_f64 v[94:95], v[104:105], v[90:91]
	v_add_f64 v[106:107], v[72:73], v[92:93]
	v_add_f64 v[72:73], v[72:73], -v[92:93]
	v_add_f64 v[92:93], v[74:75], v[86:87]
	v_add_f64 v[90:91], v[104:105], -v[90:91]
	;; [unrolled: 2-line block ×7, first 2 shown]
	v_add_f64 v[94:95], v[94:95], -v[86:87]
	v_add_f64 v[92:93], v[86:87], -v[92:93]
	v_add_f64 v[86:87], v[86:87], v[82:83]
	v_add_f64 v[112:113], v[78:79], v[74:75]
	;; [unrolled: 1-line block ×3, first 2 shown]
	v_add_f64 v[118:119], v[80:81], -v[76:77]
	v_add_f64 v[120:121], v[72:73], -v[80:81]
	v_add_f64 v[84:85], v[88:89], v[84:85]
	v_add_f64 v[80:81], v[68:69], v[86:87]
	v_add_f64 v[110:111], v[104:105], -v[106:107]
	v_add_f64 v[106:107], v[106:107], -v[88:89]
	;; [unrolled: 1-line block ×3, first 2 shown]
	v_add_f64 v[88:89], v[112:113], v[90:91]
	v_add_f64 v[82:83], v[70:71], v[84:85]
	v_mul_f64 v[112:113], v[118:119], s[14:15]
	v_mov_b64_e32 v[118:119], v[80:81]
	v_add_f64 v[116:117], v[78:79], -v[74:75]
	v_add_f64 v[74:75], v[74:75], -v[90:91]
	;; [unrolled: 1-line block ×3, first 2 shown]
	v_mul_f64 v[68:69], v[94:95], s[10:11]
	v_fmac_f64_e32 v[118:119], s[26:27], v[86:87]
	v_mov_b64_e32 v[86:87], v[82:83]
	v_add_f64 v[78:79], v[90:91], -v[78:79]
	v_add_f64 v[72:73], v[114:115], v[72:73]
	v_mul_f64 v[70:71], v[106:107], s[10:11]
	v_mul_f64 v[90:91], v[92:93], s[8:9]
	;; [unrolled: 1-line block ×6, first 2 shown]
	v_fmac_f64_e32 v[86:87], s[26:27], v[84:85]
	v_fma_f64 v[84:85], s[8:9], v[92:93], v[68:69]
	v_fma_f64 v[76:77], v[76:77], s[16:17], -v[112:113]
	v_fmac_f64_e32 v[112:113], s[24:25], v[120:121]
	v_fma_f64 v[90:91], v[108:109], s[20:21], -v[90:91]
	v_fma_f64 v[92:93], v[110:111], s[20:21], -v[94:95]
	v_fma_f64 v[68:69], v[108:109], s[22:23], -v[68:69]
	v_fma_f64 v[94:95], v[110:111], s[22:23], -v[70:71]
	v_fmac_f64_e32 v[70:71], s[8:9], v[104:105]
	v_fma_f64 v[104:105], s[24:25], v[78:79], v[106:107]
	v_fma_f64 v[74:75], v[74:75], s[16:17], -v[106:107]
	v_fma_f64 v[78:79], v[78:79], s[28:29], -v[114:115]
	v_fma_f64 v[106:107], v[120:121], s[28:29], -v[116:117]
	v_add_f64 v[108:109], v[84:85], v[118:119]
	v_fmac_f64_e32 v[112:113], s[18:19], v[72:73]
	v_add_f64 v[110:111], v[70:71], v[86:87]
	v_add_f64 v[70:71], v[90:91], v[118:119]
	;; [unrolled: 1-line block ×5, first 2 shown]
	v_fmac_f64_e32 v[104:105], s[18:19], v[88:89]
	v_fmac_f64_e32 v[74:75], s[18:19], v[88:89]
	;; [unrolled: 1-line block ×5, first 2 shown]
	v_add_f64 v[84:85], v[112:113], v[108:109]
	v_add_f64 v[86:87], v[110:111], -v[104:105]
	v_add_f64 v[88:89], v[106:107], v[116:117]
	v_add_f64 v[90:91], v[118:119], -v[78:79]
	v_add_f64 v[92:93], v[70:71], -v[76:77]
	v_add_f64 v[94:95], v[74:75], v[114:115]
	v_add_f64 v[68:69], v[76:77], v[70:71]
	v_add_f64 v[70:71], v[114:115], -v[74:75]
	v_add_f64 v[72:73], v[116:117], -v[106:107]
	v_add_f64 v[74:75], v[78:79], v[118:119]
	v_add_f64 v[76:77], v[108:109], -v[112:113]
	v_add_f64 v[78:79], v[104:105], v[110:111]
	ds_write_b128 v101, v[80:83]
	ds_write_b128 v101, v[84:87] offset:448
	ds_write_b128 v101, v[88:91] offset:896
	;; [unrolled: 1-line block ×6, first 2 shown]
	s_waitcnt lgkmcnt(0)
	; wave barrier
	s_waitcnt lgkmcnt(0)
	global_load_dwordx4 v[82:85], v[96:97], off offset:3136
	v_lshlrev_b32_e32 v80, 4, v98
	global_load_dwordx4 v[86:89], v80, s[0:1] offset:784
	global_load_dwordx4 v[90:93], v80, s[0:1] offset:1568
	;; [unrolled: 1-line block ×3, first 2 shown]
	ds_read_b128 v[108:111], v101
	ds_read_b128 v[112:115], v101 offset:784
	s_waitcnt vmcnt(3) lgkmcnt(1)
	v_mul_f64 v[94:95], v[110:111], v[84:85]
	v_mul_f64 v[118:119], v[108:109], v[84:85]
	v_fma_f64 v[116:117], v[108:109], v[82:83], -v[94:95]
	v_fmac_f64_e32 v[118:119], v[110:111], v[82:83]
	s_waitcnt vmcnt(2) lgkmcnt(0)
	v_mul_f64 v[82:83], v[114:115], v[88:89]
	ds_read_b128 v[108:111], v101 offset:1568
	v_mul_f64 v[84:85], v[112:113], v[88:89]
	v_fma_f64 v[82:83], v[112:113], v[86:87], -v[82:83]
	v_fmac_f64_e32 v[84:85], v[114:115], v[86:87]
	ds_write_b128 v101, v[82:85] offset:784
	ds_read_b128 v[82:85], v101 offset:2352
	s_waitcnt vmcnt(1) lgkmcnt(2)
	v_mul_f64 v[86:87], v[110:111], v[92:93]
	v_mul_f64 v[88:89], v[108:109], v[92:93]
	v_fma_f64 v[86:87], v[108:109], v[90:91], -v[86:87]
	v_fmac_f64_e32 v[88:89], v[110:111], v[90:91]
	ds_write_b128 v101, v[86:89] offset:1568
	s_waitcnt vmcnt(0) lgkmcnt(1)
	v_mul_f64 v[86:87], v[84:85], v[106:107]
	v_mul_f64 v[88:89], v[82:83], v[106:107]
	v_fma_f64 v[86:87], v[82:83], v[104:105], -v[86:87]
	v_fmac_f64_e32 v[88:89], v[84:85], v[104:105]
	ds_write_b128 v101, v[116:119]
	ds_write_b128 v101, v[86:89] offset:2352
	s_and_saveexec_b64 s[8:9], vcc
	s_cbranch_execz .LBB0_9
; %bb.8:
	v_mov_b32_e32 v81, 0
	v_lshl_add_u64 v[92:93], s[0:1], 0, v[80:81]
	global_load_dwordx4 v[84:87], v[92:93], off offset:448
	ds_read_b128 v[80:83], v101 offset:448
	s_waitcnt vmcnt(0) lgkmcnt(0)
	v_mul_f64 v[88:89], v[82:83], v[86:87]
	v_mul_f64 v[90:91], v[80:81], v[86:87]
	v_fma_f64 v[88:89], v[80:81], v[84:85], -v[88:89]
	v_fmac_f64_e32 v[90:91], v[82:83], v[84:85]
	global_load_dwordx4 v[84:87], v[92:93], off offset:1232
	ds_read_b128 v[80:83], v101 offset:1232
	ds_write_b128 v101, v[88:91] offset:448
	s_waitcnt vmcnt(0) lgkmcnt(1)
	v_mul_f64 v[88:89], v[82:83], v[86:87]
	v_mul_f64 v[90:91], v[80:81], v[86:87]
	v_fma_f64 v[88:89], v[80:81], v[84:85], -v[88:89]
	v_fmac_f64_e32 v[90:91], v[82:83], v[84:85]
	global_load_dwordx4 v[84:87], v[92:93], off offset:2016
	ds_read_b128 v[80:83], v101 offset:2016
	ds_write_b128 v101, v[88:91] offset:1232
	;; [unrolled: 8-line block ×3, first 2 shown]
	s_waitcnt vmcnt(0) lgkmcnt(1)
	v_mul_f64 v[88:89], v[82:83], v[86:87]
	v_mul_f64 v[90:91], v[80:81], v[86:87]
	v_fma_f64 v[88:89], v[80:81], v[84:85], -v[88:89]
	v_fmac_f64_e32 v[90:91], v[82:83], v[84:85]
	ds_write_b128 v101, v[88:91] offset:2800
.LBB0_9:
	s_or_b64 exec, exec, s[8:9]
	s_waitcnt lgkmcnt(0)
	; wave barrier
	s_waitcnt lgkmcnt(0)
	ds_read_b128 v[84:87], v101
	ds_read_b128 v[80:83], v101 offset:784
	ds_read_b128 v[92:95], v101 offset:1568
	;; [unrolled: 1-line block ×3, first 2 shown]
	s_and_saveexec_b64 s[0:1], vcc
	s_cbranch_execz .LBB0_11
; %bb.10:
	ds_read_b128 v[68:71], v101 offset:448
	ds_read_b128 v[72:75], v101 offset:1232
	;; [unrolled: 1-line block ×4, first 2 shown]
.LBB0_11:
	s_or_b64 exec, exec, s[0:1]
	s_waitcnt lgkmcnt(1)
	v_add_f64 v[92:93], v[84:85], -v[92:93]
	v_add_f64 v[94:95], v[86:87], -v[94:95]
	s_waitcnt lgkmcnt(0)
	v_add_f64 v[104:105], v[80:81], -v[88:89]
	v_add_f64 v[88:89], v[82:83], -v[90:91]
	v_fma_f64 v[84:85], v[84:85], 2.0, -v[92:93]
	v_fma_f64 v[86:87], v[86:87], 2.0, -v[94:95]
	;; [unrolled: 1-line block ×4, first 2 shown]
	v_add_f64 v[80:81], v[84:85], -v[80:81]
	v_add_f64 v[82:83], v[86:87], -v[82:83]
	v_fma_f64 v[84:85], v[84:85], 2.0, -v[80:81]
	v_fma_f64 v[86:87], v[86:87], 2.0, -v[82:83]
	v_add_f64 v[88:89], v[92:93], v[88:89]
	v_add_f64 v[90:91], v[94:95], -v[104:105]
	v_fma_f64 v[92:93], v[92:93], 2.0, -v[88:89]
	v_fma_f64 v[94:95], v[94:95], 2.0, -v[90:91]
	s_waitcnt lgkmcnt(0)
	; wave barrier
	ds_write_b128 v102, v[84:87]
	ds_write_b128 v102, v[92:95] offset:16
	ds_write_b128 v102, v[80:83] offset:32
	ds_write_b128 v102, v[88:91] offset:48
	s_and_saveexec_b64 s[0:1], vcc
	s_cbranch_execz .LBB0_13
; %bb.12:
	v_add_f64 v[84:85], v[70:71], -v[78:79]
	v_add_f64 v[16:17], v[72:73], -v[16:17]
	;; [unrolled: 1-line block ×5, first 2 shown]
	v_add_f64 v[76:77], v[86:87], v[18:19]
	v_fma_f64 v[70:71], v[70:71], 2.0, -v[84:85]
	v_fma_f64 v[18:19], v[74:75], 2.0, -v[18:19]
	;; [unrolled: 1-line block ×4, first 2 shown]
	v_add_f64 v[18:19], v[70:71], -v[18:19]
	v_add_f64 v[16:17], v[68:69], -v[16:17]
	v_fma_f64 v[70:71], v[70:71], 2.0, -v[18:19]
	v_fma_f64 v[68:69], v[68:69], 2.0, -v[16:17]
	;; [unrolled: 1-line block ×4, first 2 shown]
	ds_write_b128 v99, v[68:71]
	ds_write_b128 v99, v[80:83] offset:16
	ds_write_b128 v99, v[16:19] offset:32
	;; [unrolled: 1-line block ×3, first 2 shown]
.LBB0_13:
	s_or_b64 exec, exec, s[0:1]
	s_waitcnt lgkmcnt(0)
	; wave barrier
	s_waitcnt lgkmcnt(0)
	ds_read_b128 v[70:73], v101
	ds_read_b128 v[74:77], v101 offset:448
	ds_read_b128 v[78:81], v101 offset:896
	;; [unrolled: 1-line block ×6, first 2 shown]
	s_waitcnt lgkmcnt(5)
	v_mul_f64 v[94:95], v[34:35], v[76:77]
	v_mul_f64 v[34:35], v[34:35], v[74:75]
	v_fmac_f64_e32 v[94:95], v[32:33], v[74:75]
	v_fma_f64 v[32:33], v[32:33], v[76:77], -v[34:35]
	s_waitcnt lgkmcnt(4)
	v_mul_f64 v[34:35], v[30:31], v[80:81]
	v_mul_f64 v[30:31], v[30:31], v[78:79]
	v_fmac_f64_e32 v[34:35], v[28:29], v[78:79]
	v_fma_f64 v[28:29], v[28:29], v[80:81], -v[30:31]
	;; [unrolled: 5-line block ×6, first 2 shown]
	v_add_f64 v[38:39], v[94:95], v[42:43]
	v_add_f64 v[74:75], v[32:33], v[36:37]
	v_add_f64 v[32:33], v[32:33], -v[36:37]
	v_add_f64 v[36:37], v[34:35], v[22:23]
	v_add_f64 v[76:77], v[28:29], v[40:41]
	v_add_f64 v[22:23], v[34:35], -v[22:23]
	v_add_f64 v[28:29], v[28:29], -v[40:41]
	v_add_f64 v[34:35], v[30:31], v[26:27]
	v_add_f64 v[40:41], v[24:25], v[20:21]
	v_add_f64 v[20:21], v[20:21], -v[24:25]
	v_add_f64 v[24:25], v[36:37], v[38:39]
	v_mad_u64_u32 v[18:19], s[0:1], s6, v100, 0
	v_add_f64 v[26:27], v[26:27], -v[30:31]
	v_add_f64 v[30:31], v[76:77], v[74:75]
	v_add_f64 v[24:25], v[34:35], v[24:25]
	s_mov_b32 s10, 0xe976ee23
	v_mov_b32_e32 v16, s2
	v_mov_b32_e32 v17, s3
	v_add_f64 v[42:43], v[94:95], -v[42:43]
	v_add_f64 v[84:85], v[20:21], v[28:29]
	v_add_f64 v[86:87], v[26:27], -v[22:23]
	v_add_f64 v[88:89], v[20:21], -v[28:29]
	;; [unrolled: 1-line block ×3, first 2 shown]
	v_add_f64 v[30:31], v[40:41], v[30:31]
	v_add_f64 v[20:21], v[70:71], v[24:25]
	s_mov_b32 s2, 0x37e14327
	s_mov_b32 s0, 0x36b3c0b5
	;; [unrolled: 1-line block ×5, first 2 shown]
	v_add_f64 v[78:79], v[36:37], -v[38:39]
	v_add_f64 v[80:81], v[76:77], -v[74:75]
	;; [unrolled: 1-line block ×6, first 2 shown]
	v_add_f64 v[82:83], v[26:27], v[22:23]
	v_add_f64 v[92:93], v[22:23], -v[42:43]
	v_add_f64 v[28:29], v[28:29], -v[32:33]
	v_add_f64 v[22:23], v[72:73], v[30:31]
	s_mov_b32 s3, 0x3fe948f6
	s_mov_b32 s1, 0x3fac98ee
	v_mul_f64 v[72:73], v[86:87], s[10:11]
	s_mov_b32 s9, 0xbfebfeb5
	s_mov_b32 s13, 0xbff2aaaa
	v_mov_b64_e32 v[86:87], v[20:21]
	s_mov_b32 s14, 0x5476071b
	s_mov_b32 s18, 0xb247c609
	v_add_f64 v[26:27], v[42:43], -v[26:27]
	v_add_f64 v[34:35], v[82:83], v[42:43]
	v_add_f64 v[32:33], v[84:85], v[32:33]
	v_mul_f64 v[38:39], v[38:39], s[2:3]
	v_mul_f64 v[40:41], v[74:75], s[2:3]
	;; [unrolled: 1-line block ×7, first 2 shown]
	v_fmac_f64_e32 v[86:87], s[12:13], v[24:25]
	v_mov_b64_e32 v[24:25], v[22:23]
	s_mov_b32 s15, 0x3fe77f67
	s_mov_b32 s17, 0xbfe77f67
	;; [unrolled: 1-line block ×7, first 2 shown]
	v_fmac_f64_e32 v[24:25], s[12:13], v[30:31]
	v_fma_f64 v[30:31], v[78:79], s[14:15], -v[42:43]
	v_fma_f64 v[42:43], v[80:81], s[14:15], -v[70:71]
	v_fma_f64 v[70:71], v[78:79], s[16:17], -v[38:39]
	v_fmac_f64_e32 v[38:39], s[0:1], v[36:37]
	v_fma_f64 v[36:37], v[80:81], s[16:17], -v[40:41]
	v_fmac_f64_e32 v[40:41], s[0:1], v[76:77]
	v_fma_f64 v[76:77], v[92:93], s[8:9], -v[72:73]
	;; [unrolled: 2-line block ×4, first 2 shown]
	v_fma_f64 v[82:83], v[90:91], s[22:23], -v[84:85]
	s_mov_b32 s21, 0xbfdc38aa
	v_add_f64 v[84:85], v[38:39], v[86:87]
	v_add_f64 v[88:89], v[40:41], v[24:25]
	;; [unrolled: 1-line block ×6, first 2 shown]
	v_fmac_f64_e32 v[72:73], s[20:21], v[34:35]
	v_fmac_f64_e32 v[74:75], s[20:21], v[32:33]
	;; [unrolled: 1-line block ×6, first 2 shown]
	v_add_f64 v[24:25], v[74:75], v[84:85]
	v_add_f64 v[26:27], v[88:89], -v[72:73]
	v_add_f64 v[28:29], v[82:83], v[42:43]
	v_add_f64 v[30:31], v[70:71], -v[80:81]
	v_add_f64 v[32:33], v[38:39], -v[78:79]
	v_add_f64 v[34:35], v[76:77], v[40:41]
	v_add_f64 v[36:37], v[78:79], v[38:39]
	v_add_f64 v[38:39], v[40:41], -v[76:77]
	v_add_f64 v[40:41], v[42:43], -v[82:83]
	v_add_f64 v[42:43], v[80:81], v[70:71]
	v_add_f64 v[70:71], v[84:85], -v[74:75]
	v_add_f64 v[72:73], v[72:73], v[88:89]
	s_waitcnt lgkmcnt(0)
	; wave barrier
	ds_write_b128 v103, v[20:23]
	ds_write_b128 v103, v[24:27] offset:64
	ds_write_b128 v103, v[28:31] offset:128
	;; [unrolled: 1-line block ×6, first 2 shown]
	s_waitcnt lgkmcnt(0)
	; wave barrier
	s_waitcnt lgkmcnt(0)
	ds_read_b128 v[20:23], v101
	ds_read_b128 v[24:27], v101 offset:448
	ds_read_b128 v[28:31], v101 offset:896
	;; [unrolled: 1-line block ×6, first 2 shown]
	s_waitcnt lgkmcnt(5)
	v_mul_f64 v[74:75], v[58:59], v[26:27]
	v_fmac_f64_e32 v[74:75], v[56:57], v[24:25]
	v_mul_f64 v[24:25], v[58:59], v[24:25]
	v_fma_f64 v[24:25], v[56:57], v[26:27], -v[24:25]
	s_waitcnt lgkmcnt(4)
	v_mul_f64 v[26:27], v[54:55], v[30:31]
	v_fmac_f64_e32 v[26:27], v[52:53], v[28:29]
	v_mul_f64 v[28:29], v[54:55], v[28:29]
	v_fma_f64 v[28:29], v[52:53], v[30:31], -v[28:29]
	;; [unrolled: 5-line block ×5, first 2 shown]
	s_waitcnt lgkmcnt(0)
	v_mul_f64 v[42:43], v[62:63], v[72:73]
	v_mul_f64 v[44:45], v[62:63], v[70:71]
	v_fmac_f64_e32 v[42:43], v[60:61], v[70:71]
	v_fma_f64 v[44:45], v[60:61], v[72:73], -v[44:45]
	v_add_f64 v[46:47], v[74:75], v[42:43]
	v_add_f64 v[48:49], v[24:25], v[44:45]
	v_add_f64 v[24:25], v[24:25], -v[44:45]
	v_add_f64 v[44:45], v[26:27], v[38:39]
	v_add_f64 v[50:51], v[28:29], v[40:41]
	v_add_f64 v[26:27], v[26:27], -v[38:39]
	v_add_f64 v[38:39], v[30:31], v[34:35]
	v_add_f64 v[30:31], v[34:35], -v[30:31]
	;; [unrolled: 2-line block ×4, first 2 shown]
	v_add_f64 v[36:37], v[50:51], v[48:49]
	v_add_f64 v[34:35], v[38:39], v[34:35]
	v_add_f64 v[42:43], v[74:75], -v[42:43]
	v_add_f64 v[36:37], v[40:41], v[36:37]
	v_add_f64 v[20:21], v[20:21], v[34:35]
	v_add_f64 v[52:53], v[44:45], -v[46:47]
	v_add_f64 v[54:55], v[50:51], -v[48:49]
	;; [unrolled: 1-line block ×6, first 2 shown]
	v_add_f64 v[56:57], v[30:31], v[26:27]
	v_add_f64 v[58:59], v[32:33], v[28:29]
	v_add_f64 v[60:61], v[30:31], -v[26:27]
	v_add_f64 v[62:63], v[32:33], -v[28:29]
	;; [unrolled: 1-line block ×4, first 2 shown]
	v_add_f64 v[22:23], v[22:23], v[36:37]
	v_mov_b64_e32 v[64:65], v[20:21]
	v_add_f64 v[30:31], v[42:43], -v[30:31]
	v_add_f64 v[32:33], v[24:25], -v[32:33]
	v_add_f64 v[38:39], v[56:57], v[42:43]
	v_add_f64 v[24:25], v[58:59], v[24:25]
	v_mul_f64 v[40:41], v[46:47], s[2:3]
	v_mul_f64 v[42:43], v[48:49], s[2:3]
	;; [unrolled: 1-line block ×8, first 2 shown]
	v_fmac_f64_e32 v[64:65], s[12:13], v[34:35]
	v_mov_b64_e32 v[34:35], v[22:23]
	v_fmac_f64_e32 v[34:35], s[12:13], v[36:37]
	v_fma_f64 v[36:37], s[0:1], v[44:45], v[40:41]
	v_fma_f64 v[44:45], v[52:53], s[14:15], -v[46:47]
	v_fma_f64 v[46:47], v[54:55], s[14:15], -v[48:49]
	;; [unrolled: 1-line block ×4, first 2 shown]
	v_fmac_f64_e32 v[42:43], s[0:1], v[50:51]
	v_fma_f64 v[50:51], s[18:19], v[30:31], v[56:57]
	v_fma_f64 v[52:53], v[26:27], s[8:9], -v[56:57]
	v_fma_f64 v[54:55], v[28:29], s[8:9], -v[58:59]
	v_fmac_f64_e32 v[58:59], s[18:19], v[32:33]
	v_fma_f64 v[56:57], v[30:31], s[22:23], -v[60:61]
	v_fma_f64 v[60:61], v[32:33], s[22:23], -v[62:63]
	v_add_f64 v[62:63], v[36:37], v[64:65]
	v_add_f64 v[66:67], v[42:43], v[34:35]
	;; [unrolled: 1-line block ×6, first 2 shown]
	v_fmac_f64_e32 v[50:51], s[20:21], v[38:39]
	v_fmac_f64_e32 v[58:59], s[20:21], v[24:25]
	;; [unrolled: 1-line block ×6, first 2 shown]
	v_add_f64 v[24:25], v[58:59], v[62:63]
	v_add_f64 v[26:27], v[66:67], -v[50:51]
	v_add_f64 v[28:29], v[60:61], v[40:41]
	v_add_f64 v[30:31], v[44:45], -v[56:57]
	v_add_f64 v[32:33], v[36:37], -v[54:55]
	v_add_f64 v[34:35], v[52:53], v[42:43]
	v_add_f64 v[36:37], v[54:55], v[36:37]
	v_add_f64 v[38:39], v[42:43], -v[52:53]
	v_add_f64 v[40:41], v[40:41], -v[60:61]
	v_add_f64 v[42:43], v[56:57], v[44:45]
	v_add_f64 v[44:45], v[62:63], -v[58:59]
	v_add_f64 v[46:47], v[50:51], v[66:67]
	ds_write_b128 v101, v[20:23]
	ds_write_b128 v101, v[24:27] offset:448
	ds_write_b128 v101, v[28:31] offset:896
	;; [unrolled: 1-line block ×6, first 2 shown]
	s_waitcnt lgkmcnt(0)
	; wave barrier
	s_waitcnt lgkmcnt(0)
	ds_read_b128 v[20:23], v101
	v_mov_b32_e32 v68, v19
	v_mad_u64_u32 v[24:25], s[0:1], s7, v100, v[68:69]
	v_mov_b32_e32 v19, v24
	ds_read_b128 v[24:27], v101 offset:784
	s_waitcnt lgkmcnt(1)
	v_mul_f64 v[28:29], v[2:3], v[22:23]
	s_mov_b32 s0, 0xa72f0539
	v_mul_f64 v[2:3], v[2:3], v[20:21]
	v_fmac_f64_e32 v[28:29], v[0:1], v[20:21]
	s_mov_b32 s1, 0x3f74e5e0
	v_fma_f64 v[0:1], v[0:1], v[22:23], -v[2:3]
	v_mul_f64 v[30:31], v[0:1], s[0:1]
	v_mad_u64_u32 v[0:1], s[2:3], s4, v98, 0
	v_mov_b32_e32 v2, v1
	v_mad_u64_u32 v[2:3], s[2:3], s5, v98, v[2:3]
	v_mov_b32_e32 v1, v2
	v_lshl_add_u64 v[2:3], v[18:19], 4, v[16:17]
	s_mul_i32 s2, s5, 49
	s_mul_hi_u32 s3, s4, 49
	v_lshl_add_u64 v[16:17], v[0:1], 4, v[2:3]
	s_waitcnt lgkmcnt(0)
	v_mul_f64 v[0:1], v[14:15], v[26:27]
	v_mul_f64 v[2:3], v[14:15], v[24:25]
	s_add_i32 s3, s3, s2
	s_mul_i32 s2, s4, 49
	v_fmac_f64_e32 v[0:1], v[12:13], v[24:25]
	v_fma_f64 v[2:3], v[12:13], v[26:27], -v[2:3]
	ds_read_b128 v[12:15], v101 offset:1568
	s_lshl_b64 s[2:3], s[2:3], 4
	v_mul_f64 v[28:29], v[28:29], s[0:1]
	v_mul_f64 v[0:1], v[0:1], s[0:1]
	;; [unrolled: 1-line block ×3, first 2 shown]
	v_lshl_add_u64 v[20:21], v[16:17], 0, s[2:3]
	global_store_dwordx4 v[16:17], v[28:31], off
	global_store_dwordx4 v[20:21], v[0:3], off
	ds_read_b128 v[0:3], v101 offset:2352
	s_waitcnt lgkmcnt(1)
	v_mul_f64 v[16:17], v[6:7], v[14:15]
	v_mul_f64 v[6:7], v[6:7], v[12:13]
	v_fmac_f64_e32 v[16:17], v[4:5], v[12:13]
	v_fma_f64 v[4:5], v[4:5], v[14:15], -v[6:7]
	v_mul_f64 v[18:19], v[4:5], s[0:1]
	s_waitcnt lgkmcnt(0)
	v_mul_f64 v[4:5], v[10:11], v[2:3]
	v_fmac_f64_e32 v[4:5], v[8:9], v[0:1]
	v_mul_f64 v[0:1], v[10:11], v[0:1]
	v_lshl_add_u64 v[12:13], v[20:21], 0, s[2:3]
	v_fma_f64 v[0:1], v[8:9], v[2:3], -v[0:1]
	v_mul_f64 v[16:17], v[16:17], s[0:1]
	v_mul_f64 v[4:5], v[4:5], s[0:1]
	v_mul_f64 v[6:7], v[0:1], s[0:1]
	v_lshl_add_u64 v[0:1], v[12:13], 0, s[2:3]
	global_store_dwordx4 v[12:13], v[16:19], off
	global_store_dwordx4 v[0:1], v[4:7], off
	s_and_b64 exec, exec, vcc
	s_cbranch_execz .LBB0_15
; %bb.14:
	global_load_dwordx4 v[2:5], v[96:97], off offset:448
	global_load_dwordx4 v[6:9], v[96:97], off offset:1232
	global_load_dwordx4 v[10:13], v[96:97], off offset:2016
	global_load_dwordx4 v[14:17], v[96:97], off offset:2800
	ds_read_b128 v[18:21], v101 offset:448
	ds_read_b128 v[22:25], v101 offset:1232
	;; [unrolled: 1-line block ×4, first 2 shown]
	v_mov_b32_e32 v34, 0xfffff890
	s_mulk_i32 s5, 0xf890
	v_mad_u64_u32 v[34:35], s[6:7], s4, v34, v[0:1]
	s_sub_i32 s4, s5, s4
	v_add_u32_e32 v35, s4, v35
	v_lshl_add_u64 v[36:37], v[34:35], 0, s[2:3]
	v_lshl_add_u64 v[38:39], v[36:37], 0, s[2:3]
	;; [unrolled: 1-line block ×3, first 2 shown]
	s_waitcnt vmcnt(3) lgkmcnt(3)
	v_mul_f64 v[0:1], v[20:21], v[4:5]
	v_mul_f64 v[4:5], v[18:19], v[4:5]
	s_waitcnt vmcnt(2) lgkmcnt(2)
	v_mul_f64 v[42:43], v[24:25], v[8:9]
	v_mul_f64 v[8:9], v[22:23], v[8:9]
	;; [unrolled: 3-line block ×4, first 2 shown]
	v_fmac_f64_e32 v[0:1], v[18:19], v[2:3]
	v_fma_f64 v[2:3], v[2:3], v[20:21], -v[4:5]
	v_fmac_f64_e32 v[42:43], v[22:23], v[6:7]
	v_fma_f64 v[6:7], v[6:7], v[24:25], -v[8:9]
	;; [unrolled: 2-line block ×4, first 2 shown]
	v_mul_f64 v[0:1], v[0:1], s[0:1]
	v_mul_f64 v[2:3], v[2:3], s[0:1]
	;; [unrolled: 1-line block ×8, first 2 shown]
	global_store_dwordx4 v[34:35], v[0:3], off
	global_store_dwordx4 v[36:37], v[4:7], off
	;; [unrolled: 1-line block ×4, first 2 shown]
.LBB0_15:
	s_endpgm
	.section	.rodata,"a",@progbits
	.p2align	6, 0x0
	.amdhsa_kernel bluestein_single_back_len196_dim1_dp_op_CI_CI
		.amdhsa_group_segment_fixed_size 6272
		.amdhsa_private_segment_fixed_size 0
		.amdhsa_kernarg_size 104
		.amdhsa_user_sgpr_count 2
		.amdhsa_user_sgpr_dispatch_ptr 0
		.amdhsa_user_sgpr_queue_ptr 0
		.amdhsa_user_sgpr_kernarg_segment_ptr 1
		.amdhsa_user_sgpr_dispatch_id 0
		.amdhsa_user_sgpr_kernarg_preload_length 0
		.amdhsa_user_sgpr_kernarg_preload_offset 0
		.amdhsa_user_sgpr_private_segment_size 0
		.amdhsa_uses_dynamic_stack 0
		.amdhsa_enable_private_segment 0
		.amdhsa_system_sgpr_workgroup_id_x 1
		.amdhsa_system_sgpr_workgroup_id_y 0
		.amdhsa_system_sgpr_workgroup_id_z 0
		.amdhsa_system_sgpr_workgroup_info 0
		.amdhsa_system_vgpr_workitem_id 0
		.amdhsa_next_free_vgpr 122
		.amdhsa_next_free_sgpr 31
		.amdhsa_accum_offset 124
		.amdhsa_reserve_vcc 1
		.amdhsa_float_round_mode_32 0
		.amdhsa_float_round_mode_16_64 0
		.amdhsa_float_denorm_mode_32 3
		.amdhsa_float_denorm_mode_16_64 3
		.amdhsa_dx10_clamp 1
		.amdhsa_ieee_mode 1
		.amdhsa_fp16_overflow 0
		.amdhsa_tg_split 0
		.amdhsa_exception_fp_ieee_invalid_op 0
		.amdhsa_exception_fp_denorm_src 0
		.amdhsa_exception_fp_ieee_div_zero 0
		.amdhsa_exception_fp_ieee_overflow 0
		.amdhsa_exception_fp_ieee_underflow 0
		.amdhsa_exception_fp_ieee_inexact 0
		.amdhsa_exception_int_div_zero 0
	.end_amdhsa_kernel
	.text
.Lfunc_end0:
	.size	bluestein_single_back_len196_dim1_dp_op_CI_CI, .Lfunc_end0-bluestein_single_back_len196_dim1_dp_op_CI_CI
                                        ; -- End function
	.section	.AMDGPU.csdata,"",@progbits
; Kernel info:
; codeLenInByte = 7032
; NumSgprs: 37
; NumVgprs: 122
; NumAgprs: 0
; TotalNumVgprs: 122
; ScratchSize: 0
; MemoryBound: 0
; FloatMode: 240
; IeeeMode: 1
; LDSByteSize: 6272 bytes/workgroup (compile time only)
; SGPRBlocks: 4
; VGPRBlocks: 15
; NumSGPRsForWavesPerEU: 37
; NumVGPRsForWavesPerEU: 122
; AccumOffset: 124
; Occupancy: 4
; WaveLimiterHint : 1
; COMPUTE_PGM_RSRC2:SCRATCH_EN: 0
; COMPUTE_PGM_RSRC2:USER_SGPR: 2
; COMPUTE_PGM_RSRC2:TRAP_HANDLER: 0
; COMPUTE_PGM_RSRC2:TGID_X_EN: 1
; COMPUTE_PGM_RSRC2:TGID_Y_EN: 0
; COMPUTE_PGM_RSRC2:TGID_Z_EN: 0
; COMPUTE_PGM_RSRC2:TIDIG_COMP_CNT: 0
; COMPUTE_PGM_RSRC3_GFX90A:ACCUM_OFFSET: 30
; COMPUTE_PGM_RSRC3_GFX90A:TG_SPLIT: 0
	.text
	.p2alignl 6, 3212836864
	.fill 256, 4, 3212836864
	.type	__hip_cuid_b0e24892fff8aed2,@object ; @__hip_cuid_b0e24892fff8aed2
	.section	.bss,"aw",@nobits
	.globl	__hip_cuid_b0e24892fff8aed2
__hip_cuid_b0e24892fff8aed2:
	.byte	0                               ; 0x0
	.size	__hip_cuid_b0e24892fff8aed2, 1

	.ident	"AMD clang version 19.0.0git (https://github.com/RadeonOpenCompute/llvm-project roc-6.4.0 25133 c7fe45cf4b819c5991fe208aaa96edf142730f1d)"
	.section	".note.GNU-stack","",@progbits
	.addrsig
	.addrsig_sym __hip_cuid_b0e24892fff8aed2
	.amdgpu_metadata
---
amdhsa.kernels:
  - .agpr_count:     0
    .args:
      - .actual_access:  read_only
        .address_space:  global
        .offset:         0
        .size:           8
        .value_kind:     global_buffer
      - .actual_access:  read_only
        .address_space:  global
        .offset:         8
        .size:           8
        .value_kind:     global_buffer
      - .actual_access:  read_only
        .address_space:  global
        .offset:         16
        .size:           8
        .value_kind:     global_buffer
      - .actual_access:  read_only
        .address_space:  global
        .offset:         24
        .size:           8
        .value_kind:     global_buffer
      - .actual_access:  read_only
        .address_space:  global
        .offset:         32
        .size:           8
        .value_kind:     global_buffer
      - .offset:         40
        .size:           8
        .value_kind:     by_value
      - .address_space:  global
        .offset:         48
        .size:           8
        .value_kind:     global_buffer
      - .address_space:  global
        .offset:         56
        .size:           8
        .value_kind:     global_buffer
      - .address_space:  global
        .offset:         64
        .size:           8
        .value_kind:     global_buffer
      - .address_space:  global
        .offset:         72
        .size:           8
        .value_kind:     global_buffer
      - .offset:         80
        .size:           4
        .value_kind:     by_value
      - .address_space:  global
        .offset:         88
        .size:           8
        .value_kind:     global_buffer
      - .address_space:  global
        .offset:         96
        .size:           8
        .value_kind:     global_buffer
    .group_segment_fixed_size: 6272
    .kernarg_segment_align: 8
    .kernarg_segment_size: 104
    .language:       OpenCL C
    .language_version:
      - 2
      - 0
    .max_flat_workgroup_size: 56
    .name:           bluestein_single_back_len196_dim1_dp_op_CI_CI
    .private_segment_fixed_size: 0
    .sgpr_count:     37
    .sgpr_spill_count: 0
    .symbol:         bluestein_single_back_len196_dim1_dp_op_CI_CI.kd
    .uniform_work_group_size: 1
    .uses_dynamic_stack: false
    .vgpr_count:     122
    .vgpr_spill_count: 0
    .wavefront_size: 64
amdhsa.target:   amdgcn-amd-amdhsa--gfx950
amdhsa.version:
  - 1
  - 2
...

	.end_amdgpu_metadata
